;; amdgpu-corpus repo=ROCm/rocFFT kind=compiled arch=gfx1030 opt=O3
	.text
	.amdgcn_target "amdgcn-amd-amdhsa--gfx1030"
	.amdhsa_code_object_version 6
	.protected	fft_rtc_back_len625_factors_5_5_5_5_wgs_125_tpt_125_dp_op_CI_CI_sbrc_xy_z_aligned ; -- Begin function fft_rtc_back_len625_factors_5_5_5_5_wgs_125_tpt_125_dp_op_CI_CI_sbrc_xy_z_aligned
	.globl	fft_rtc_back_len625_factors_5_5_5_5_wgs_125_tpt_125_dp_op_CI_CI_sbrc_xy_z_aligned
	.p2align	8
	.type	fft_rtc_back_len625_factors_5_5_5_5_wgs_125_tpt_125_dp_op_CI_CI_sbrc_xy_z_aligned,@function
fft_rtc_back_len625_factors_5_5_5_5_wgs_125_tpt_125_dp_op_CI_CI_sbrc_xy_z_aligned: ; @fft_rtc_back_len625_factors_5_5_5_5_wgs_125_tpt_125_dp_op_CI_CI_sbrc_xy_z_aligned
; %bb.0:
	s_clause 0x2
	s_load_dwordx4 s[16:19], s[4:5], 0x10
	s_load_dwordx2 s[24:25], s[4:5], 0x0
	s_load_dwordx2 s[28:29], s[4:5], 0x20
	s_waitcnt lgkmcnt(0)
	s_load_dwordx4 s[20:23], s[16:17], 0x8
	s_clause 0x1
	s_load_dwordx4 s[12:15], s[18:19], 0x0
	s_load_dwordx2 s[26:27], s[18:19], 0x10
	s_waitcnt lgkmcnt(0)
	s_mul_i32 s22, s20, s22
	v_cvt_f32_u32_e32 v1, s22
	s_sub_i32 s1, 0, s22
	v_rcp_iflag_f32_e32 v1, v1
	v_mul_f32_e32 v1, 0x4f7ffffe, v1
	v_cvt_u32_f32_e32 v1, v1
	v_readfirstlane_b32 s0, v1
	v_cvt_f32_u32_e32 v1, s20
	s_mul_i32 s1, s1, s0
	s_mul_hi_u32 s1, s0, s1
	s_add_i32 s7, s0, s1
	s_load_dwordx4 s[0:3], s[4:5], 0x58
	s_mul_hi_u32 s7, s6, s7
	s_mul_i32 s8, s7, s22
	s_add_i32 s23, s7, 1
	s_sub_i32 s15, s6, s8
	s_clause 0x1
	s_load_dwordx4 s[8:11], s[28:29], 0x0
	s_load_dwordx2 s[16:17], s[28:29], 0x10
	s_sub_i32 s27, s15, s22
	s_cmp_ge_u32 s15, s22
	s_cselect_b32 s7, s23, s7
	s_waitcnt lgkmcnt(0)
	s_cselect_b32 s11, s27, s15
	s_add_i32 s15, s7, 1
	s_cmp_ge_u32 s11, s22
	s_cselect_b32 s11, s15, s7
	s_mov_b32 s7, 0
	s_mul_i32 s15, s11, s22
	s_mov_b32 s31, s7
	s_sub_i32 s30, s6, s15
	s_mov_b64 s[22:23], 0
	v_cmp_lt_u64_e64 s15, s[30:31], s[20:21]
	s_and_b32 vcc_lo, exec_lo, s15
	s_cbranch_vccnz .LBB0_2
; %bb.1:
	v_rcp_iflag_f32_e32 v2, v1
	s_sub_i32 s17, 0, s20
	v_mul_f32_e32 v2, 0x4f7ffffe, v2
	v_cvt_u32_f32_e32 v2, v2
	v_readfirstlane_b32 s15, v2
	s_mul_i32 s17, s17, s15
	s_mul_hi_u32 s17, s15, s17
	s_add_i32 s15, s15, s17
	s_mul_hi_u32 s15, s30, s15
	s_mul_i32 s17, s15, s20
	s_add_i32 s22, s15, 1
	s_sub_i32 s17, s30, s17
	s_sub_i32 s23, s17, s20
	s_cmp_ge_u32 s17, s20
	s_cselect_b32 s15, s22, s15
	s_cselect_b32 s17, s23, s17
	s_add_i32 s22, s15, 1
	s_cmp_ge_u32 s17, s20
	s_cselect_b32 s22, s22, s15
.LBB0_2:
	v_cmp_lt_u64_e64 s7, s[6:7], s[20:21]
	s_and_b32 vcc_lo, exec_lo, s7
	s_cbranch_vccnz .LBB0_4
; %bb.3:
	v_rcp_iflag_f32_e32 v1, v1
	s_sub_i32 s15, 0, s20
	v_mul_f32_e32 v1, 0x4f7ffffe, v1
	v_cvt_u32_f32_e32 v1, v1
	v_readfirstlane_b32 s7, v1
	s_mul_i32 s15, s15, s7
	s_mul_hi_u32 s15, s7, s15
	s_add_i32 s7, s7, s15
	s_mul_hi_u32 s7, s6, s7
	s_mul_i32 s7, s7, s20
	s_sub_i32 s6, s6, s7
	s_sub_i32 s7, s6, s20
	s_cmp_ge_u32 s6, s20
	s_cselect_b32 s6, s7, s6
	s_sub_i32 s7, s6, s20
	s_cmp_ge_u32 s6, s20
	s_cselect_b32 s6, s7, s6
.LBB0_4:
	s_load_dwordx2 s[4:5], s[4:5], 0x8
	s_mul_i32 s7, s6, s14
	s_mul_i32 s14, s22, s26
	s_mul_i32 s9, s22, s9
	s_mul_hi_u32 s15, s22, s8
	s_add_i32 s14, s7, s14
	v_cmp_lt_u32_e32 vcc_lo, 0x270, v0
	v_add_nc_u32_e32 v3, 0xfffffd8f, v0
	v_mov_b32_e32 v5, 0x7d
	v_add_nc_u32_e32 v13, 0x1f4, v0
	v_add_nc_u32_e32 v20, 0x177, v0
	v_cndmask_b32_e64 v1, 0, s26, vcc_lo
	v_cmp_gt_u32_e32 vcc_lo, 0x271, v0
	v_add_nc_u32_e32 v15, 0xfa, v0
	v_mul_u32_u24_e32 v10, 0x69, v13
	v_mov_b32_e32 v2, 0
	s_mov_b32 s27, 0x3fe2cf23
	v_cndmask_b32_e32 v14, v3, v0, vcc_lo
	v_cmp_gt_u32_e32 vcc_lo, 0x1f4, v0
	v_lshrrev_b32_e32 v21, 16, v10
	s_waitcnt lgkmcnt(0)
	s_lshl_b64 s[20:21], s[4:5], 3
	s_add_i32 s5, s15, s9
	s_add_u32 s18, s18, s20
	s_addc_u32 s19, s19, s21
	v_cndmask_b32_e32 v9, 0xfffffe0c, v5, vcc_lo
	s_load_dwordx2 s[30:31], s[18:19], 0x0
	v_mad_u64_u32 v[7:8], null, s12, v14, 0
	v_mul_lo_u16 v17, 0x271, v21
	v_add_nc_u32_e32 v16, v0, v9
	v_mad_u64_u32 v[9:10], null, s12, v20, 0
	v_mad_u64_u32 v[5:6], null, s12, v15, 0
	v_mad_u64_u32 v[11:12], null, s12, v16, 0
	v_sub_nc_u16 v17, v13, v17
	v_cmp_lt_u32_e32 vcc_lo, 0x1f3, v0
	v_mad_u64_u32 v[13:14], null, s13, v14, v[8:9]
	v_mad_u64_u32 v[14:15], null, s13, v15, v[6:7]
	v_mov_b32_e32 v8, v12
	v_and_b32_e32 v22, 0xffff, v17
	s_mov_b32 s15, 0
	s_waitcnt lgkmcnt(0)
	s_mul_i32 s4, s31, s11
	s_mul_hi_u32 s7, s30, s11
	v_mad_u64_u32 v[15:16], null, s13, v16, v[8:9]
	s_add_i32 s31, s7, s4
	s_add_u32 s18, s28, s20
	s_addc_u32 s19, s29, s21
	v_mad_u64_u32 v[16:17], null, s12, v22, 0
	s_load_dwordx2 s[18:19], s[18:19], 0x0
	v_mov_b32_e32 v8, v13
	v_mov_b32_e32 v12, v15
	v_lshlrev_b64 v[3:4], 4, v[1:2]
	v_cndmask_b32_e64 v1, 0, s26, vcc_lo
	s_lshl_b64 s[20:21], s[14:15], 4
	v_lshlrev_b64 v[7:8], 4, v[7:8]
	s_mul_i32 s30, s30, s11
	v_lshlrev_b64 v[11:12], 4, v[11:12]
	v_lshlrev_b64 v[18:19], 4, v[1:2]
	v_mov_b32_e32 v1, v10
	v_mov_b32_e32 v10, v17
	;; [unrolled: 1-line block ×3, first 2 shown]
	s_mov_b32 s28, 0x372fe950
	s_mov_b32 s29, 0x3fd3c6ef
	v_mov_b32_e32 v59, 4
	s_mul_i32 s14, s6, s16
	v_lshlrev_b64 v[5:6], 4, v[5:6]
	s_waitcnt lgkmcnt(0)
	s_mul_i32 s4, s19, s11
	s_mul_hi_u32 s7, s18, s11
	s_mul_i32 s6, s18, s11
	s_add_i32 s7, s7, s4
	s_add_u32 s4, s0, s20
	s_addc_u32 s9, s1, s21
	s_lshl_b64 s[0:1], s[30:31], 4
	s_mov_b32 s21, 0x3fee6f0e
	s_add_u32 s0, s4, s0
	s_addc_u32 s1, s9, s1
	v_add_co_u32 v13, vcc_lo, s0, v7
	v_add_co_ci_u32_e32 v14, vcc_lo, s1, v8, vcc_lo
	v_mad_u64_u32 v[7:8], null, s13, v22, v[10:11]
	v_add_co_u32 v3, vcc_lo, v13, v3
	v_add_co_ci_u32_e32 v4, vcc_lo, v14, v4, vcc_lo
	v_mad_u64_u32 v[13:14], null, s13, v20, v[1:2]
	v_add_co_u32 v1, vcc_lo, s0, v11
	v_add_co_ci_u32_e32 v8, vcc_lo, s1, v12, vcc_lo
	v_mov_b32_e32 v17, v7
	v_add_co_u32 v18, vcc_lo, v1, v18
	v_add_co_ci_u32_e32 v19, vcc_lo, v8, v19, vcc_lo
	v_mov_b32_e32 v10, v13
	v_mul_lo_u32 v1, s26, v21
	v_lshlrev_b64 v[7:8], 4, v[16:17]
	v_add_co_u32 v5, vcc_lo, s0, v5
	v_add_co_ci_u32_e32 v6, vcc_lo, s1, v6, vcc_lo
	v_lshlrev_b64 v[9:10], 4, v[9:10]
	v_add_co_u32 v13, vcc_lo, s0, v7
	v_add_co_ci_u32_e32 v14, vcc_lo, s1, v8, vcc_lo
	;; [unrolled: 3-line block ×3, first 2 shown]
	v_mul_u32_u24_e32 v1, 0x20d, v0
	v_add_co_u32 v22, vcc_lo, v13, v7
	v_add_co_ci_u32_e32 v23, vcc_lo, v14, v8, vcc_lo
	s_clause 0x4
	global_load_dwordx4 v[6:9], v[5:6], off
	global_load_dwordx4 v[10:13], v[11:12], off
	;; [unrolled: 1-line block ×5, first 2 shown]
	v_lshrrev_b32_e32 v1, 16, v1
	v_lshl_add_u32 v3, v0, 4, 0
	s_mov_b32 s0, 0x134454ff
	s_mov_b32 s1, 0xbfee6f0e
	;; [unrolled: 1-line block ×3, first 2 shown]
	v_mul_lo_u16 v1, 0x7d, v1
	s_mov_b32 s12, 0x4755a5e
	s_mov_b32 s13, 0xbfe2cf23
	;; [unrolled: 1-line block ×3, first 2 shown]
	s_mul_i32 s9, s10, 0x7d
	v_sub_nc_u16 v5, v0, v1
	s_mul_i32 s4, s22, s8
	s_waitcnt vmcnt(4)
	ds_write_b128 v3, v[6:9] offset:4000
	s_waitcnt vmcnt(3)
	ds_write_b128 v3, v[10:13] offset:6000
	s_waitcnt vmcnt(2)
	ds_write_b128 v3, v[14:17]
	s_waitcnt vmcnt(1)
	ds_write_b128 v3, v[18:21] offset:2000
	s_waitcnt vmcnt(0)
	ds_write_b128 v3, v[22:25] offset:8000
	v_and_b32_e32 v1, 0xffff, v5
	s_waitcnt lgkmcnt(0)
	s_barrier
	buffer_gl0_inv
	v_lshl_add_u32 v4, v1, 4, 0
	ds_read_b128 v[6:9], v4 offset:4000
	ds_read_b128 v[10:13], v4 offset:6000
	;; [unrolled: 1-line block ×4, first 2 shown]
	ds_read_b128 v[22:25], v4
	v_lshlrev_b32_e32 v1, 6, v1
	s_waitcnt lgkmcnt(0)
	s_barrier
	buffer_gl0_inv
	v_add_f64 v[26:27], v[6:7], v[10:11]
	v_add_f64 v[30:31], v[8:9], v[12:13]
	;; [unrolled: 1-line block ×6, first 2 shown]
	v_add_f64 v[36:37], v[16:17], -v[20:21]
	v_add_f64 v[42:43], v[14:15], -v[18:19]
	;; [unrolled: 1-line block ×9, first 2 shown]
	v_fma_f64 v[26:27], v[26:27], -0.5, v[22:23]
	v_fma_f64 v[30:31], v[30:31], -0.5, v[24:25]
	;; [unrolled: 1-line block ×3, first 2 shown]
	v_add_f64 v[28:29], v[6:7], -v[10:11]
	v_fma_f64 v[24:25], v[32:33], -0.5, v[24:25]
	v_add_f64 v[32:33], v[14:15], -v[6:7]
	v_add_f64 v[14:15], v[6:7], -v[14:15]
	v_add_f64 v[6:7], v[34:35], v[6:7]
	v_add_f64 v[8:9], v[40:41], v[8:9]
	;; [unrolled: 1-line block ×3, first 2 shown]
	v_fma_f64 v[34:35], v[36:37], s[0:1], v[26:27]
	v_fma_f64 v[26:27], v[36:37], s[20:21], v[26:27]
	;; [unrolled: 1-line block ×8, first 2 shown]
	v_add_f64 v[6:7], v[6:7], v[10:11]
	v_add_f64 v[8:9], v[8:9], v[12:13]
	v_add_f64 v[32:33], v[32:33], v[44:45]
	v_add_f64 v[44:45], v[14:15], v[46:47]
	v_add_f64 v[46:47], v[48:49], v[50:51]
	v_mul_lo_u16 v14, 0x67, v5
	v_fma_f64 v[10:11], v[38:39], s[12:13], v[34:35]
	v_fma_f64 v[12:13], v[38:39], s[26:27], v[26:27]
	;; [unrolled: 1-line block ×8, first 2 shown]
	v_add_f64 v[6:7], v[6:7], v[18:19]
	v_add_f64 v[8:9], v[8:9], v[20:21]
	v_lshrrev_b16 v56, 9, v14
	v_mov_b32_e32 v57, 6
	v_fma_f64 v[10:11], v[32:33], s[28:29], v[10:11]
	v_fma_f64 v[14:15], v[32:33], s[28:29], v[12:13]
	;; [unrolled: 1-line block ×8, first 2 shown]
	v_mul_lo_u16 v26, v56, 5
	v_sub_nc_u16 v58, v5, v26
	v_add_nc_u32_e32 v26, v4, v1
	ds_write_b128 v26, v[6:9]
	ds_write_b128 v26, v[10:13] offset:16
	ds_write_b128 v26, v[18:21] offset:32
	ds_write_b128 v26, v[22:25] offset:48
	ds_write_b128 v26, v[14:17] offset:64
	v_lshlrev_b32_sdwa v27, v57, v58 dst_sel:DWORD dst_unused:UNUSED_PAD src0_sel:DWORD src1_sel:BYTE_0
	s_waitcnt lgkmcnt(0)
	s_barrier
	buffer_gl0_inv
	s_clause 0x3
	global_load_dwordx4 v[6:9], v27, s[24:25]
	global_load_dwordx4 v[10:13], v27, s[24:25] offset:16
	global_load_dwordx4 v[14:17], v27, s[24:25] offset:32
	;; [unrolled: 1-line block ×3, first 2 shown]
	ds_read_b128 v[22:25], v4 offset:2000
	ds_read_b128 v[26:29], v4 offset:4000
	;; [unrolled: 1-line block ×4, first 2 shown]
	s_waitcnt vmcnt(3) lgkmcnt(3)
	v_mul_f64 v[38:39], v[24:25], v[8:9]
	s_waitcnt vmcnt(2) lgkmcnt(2)
	v_mul_f64 v[40:41], v[28:29], v[12:13]
	;; [unrolled: 2-line block ×3, first 2 shown]
	v_mul_f64 v[12:13], v[26:27], v[12:13]
	v_mul_f64 v[16:17], v[30:31], v[16:17]
	;; [unrolled: 1-line block ×3, first 2 shown]
	s_waitcnt vmcnt(0) lgkmcnt(0)
	v_mul_f64 v[44:45], v[36:37], v[20:21]
	v_mul_f64 v[20:21], v[34:35], v[20:21]
	v_fma_f64 v[22:23], v[22:23], v[6:7], v[38:39]
	v_fma_f64 v[26:27], v[26:27], v[10:11], v[40:41]
	;; [unrolled: 1-line block ×3, first 2 shown]
	v_fma_f64 v[10:11], v[28:29], v[10:11], -v[12:13]
	v_fma_f64 v[12:13], v[32:33], v[14:15], -v[16:17]
	;; [unrolled: 1-line block ×3, first 2 shown]
	v_fma_f64 v[34:35], v[34:35], v[18:19], v[44:45]
	v_fma_f64 v[14:15], v[36:37], v[18:19], -v[20:21]
	ds_read_b128 v[6:9], v4
	s_waitcnt lgkmcnt(0)
	s_barrier
	buffer_gl0_inv
	v_add_f64 v[40:41], v[22:23], -v[26:27]
	v_add_f64 v[16:17], v[26:27], v[30:31]
	v_add_f64 v[20:21], v[10:11], v[12:13]
	v_add_f64 v[38:39], v[10:11], -v[12:13]
	v_add_f64 v[18:19], v[22:23], v[34:35]
	v_add_f64 v[28:29], v[24:25], v[14:15]
	;; [unrolled: 1-line block ×4, first 2 shown]
	v_add_f64 v[36:37], v[24:25], -v[14:15]
	v_add_f64 v[42:43], v[34:35], -v[30:31]
	;; [unrolled: 1-line block ×8, first 2 shown]
	v_fma_f64 v[16:17], v[16:17], -0.5, v[6:7]
	v_fma_f64 v[20:21], v[20:21], -0.5, v[8:9]
	;; [unrolled: 1-line block ×3, first 2 shown]
	v_add_f64 v[18:19], v[26:27], -v[30:31]
	v_fma_f64 v[8:9], v[28:29], -0.5, v[8:9]
	v_add_f64 v[26:27], v[32:33], v[26:27]
	v_add_f64 v[10:11], v[44:45], v[10:11]
	v_add_f64 v[28:29], v[30:31], -v[34:35]
	v_add_f64 v[32:33], v[40:41], v[42:43]
	v_add_f64 v[24:25], v[24:25], v[52:53]
	v_fma_f64 v[40:41], v[36:37], s[0:1], v[16:17]
	v_fma_f64 v[16:17], v[36:37], s[20:21], v[16:17]
	;; [unrolled: 1-line block ×8, first 2 shown]
	v_add_f64 v[26:27], v[26:27], v[30:31]
	v_add_f64 v[10:11], v[10:11], v[12:13]
	;; [unrolled: 1-line block ×4, first 2 shown]
	v_fma_f64 v[12:13], v[38:39], s[12:13], v[40:41]
	v_fma_f64 v[16:17], v[38:39], s[26:27], v[16:17]
	;; [unrolled: 1-line block ×8, first 2 shown]
	v_mul_lo_u16 v6, v5, 41
	v_add_f64 v[8:9], v[10:11], v[14:15]
	v_lshrrev_b16 v55, 10, v6
	v_add_f64 v[6:7], v[26:27], v[34:35]
	v_mov_b32_e32 v26, 0x190
	v_mul_lo_u16 v27, v55, 25
	v_mul_u32_u24_sdwa v26, v56, v26 dst_sel:DWORD dst_unused:UNUSED_PAD src0_sel:WORD_0 src1_sel:DWORD
	v_fma_f64 v[10:11], v[32:33], s[28:29], v[12:13]
	v_fma_f64 v[14:15], v[32:33], s[28:29], v[16:17]
	;; [unrolled: 1-line block ×8, first 2 shown]
	v_lshlrev_b32_sdwa v28, v59, v58 dst_sel:DWORD dst_unused:UNUSED_PAD src0_sel:DWORD src1_sel:BYTE_0
	v_sub_nc_u16 v56, v5, v27
	v_add3_u32 v5, 0, v26, v28
	v_lshlrev_b32_sdwa v26, v57, v56 dst_sel:DWORD dst_unused:UNUSED_PAD src0_sel:DWORD src1_sel:BYTE_0
	ds_write_b128 v5, v[6:9]
	ds_write_b128 v5, v[10:13] offset:80
	ds_write_b128 v5, v[18:21] offset:160
	;; [unrolled: 1-line block ×4, first 2 shown]
	s_waitcnt lgkmcnt(0)
	s_barrier
	buffer_gl0_inv
	s_clause 0x3
	global_load_dwordx4 v[5:8], v26, s[24:25] offset:320
	global_load_dwordx4 v[9:12], v26, s[24:25] offset:336
	;; [unrolled: 1-line block ×4, first 2 shown]
	ds_read_b128 v[21:24], v4 offset:2000
	ds_read_b128 v[25:28], v4 offset:4000
	;; [unrolled: 1-line block ×4, first 2 shown]
	s_waitcnt vmcnt(3) lgkmcnt(3)
	v_mul_f64 v[37:38], v[23:24], v[7:8]
	s_waitcnt vmcnt(2) lgkmcnt(2)
	v_mul_f64 v[39:40], v[27:28], v[11:12]
	;; [unrolled: 2-line block ×3, first 2 shown]
	v_mul_f64 v[11:12], v[25:26], v[11:12]
	v_mul_f64 v[15:16], v[29:30], v[15:16]
	;; [unrolled: 1-line block ×3, first 2 shown]
	s_waitcnt vmcnt(0) lgkmcnt(0)
	v_mul_f64 v[43:44], v[35:36], v[19:20]
	v_mul_f64 v[19:20], v[33:34], v[19:20]
	v_fma_f64 v[21:22], v[21:22], v[5:6], v[37:38]
	v_fma_f64 v[25:26], v[25:26], v[9:10], v[39:40]
	;; [unrolled: 1-line block ×3, first 2 shown]
	v_fma_f64 v[9:10], v[27:28], v[9:10], -v[11:12]
	v_fma_f64 v[11:12], v[31:32], v[13:14], -v[15:16]
	;; [unrolled: 1-line block ×3, first 2 shown]
	v_fma_f64 v[33:34], v[33:34], v[17:18], v[43:44]
	v_fma_f64 v[13:14], v[35:36], v[17:18], -v[19:20]
	ds_read_b128 v[5:8], v4
	s_waitcnt lgkmcnt(0)
	s_barrier
	buffer_gl0_inv
	v_add_f64 v[39:40], v[21:22], -v[25:26]
	v_add_f64 v[15:16], v[25:26], v[29:30]
	v_add_f64 v[19:20], v[9:10], v[11:12]
	v_add_f64 v[37:38], v[9:10], -v[11:12]
	v_add_f64 v[17:18], v[21:22], v[33:34]
	v_add_f64 v[27:28], v[23:24], v[13:14]
	;; [unrolled: 1-line block ×4, first 2 shown]
	v_add_f64 v[35:36], v[23:24], -v[13:14]
	v_add_f64 v[41:42], v[33:34], -v[29:30]
	;; [unrolled: 1-line block ×8, first 2 shown]
	v_fma_f64 v[15:16], v[15:16], -0.5, v[5:6]
	v_fma_f64 v[19:20], v[19:20], -0.5, v[7:8]
	v_fma_f64 v[5:6], v[17:18], -0.5, v[5:6]
	v_add_f64 v[17:18], v[25:26], -v[29:30]
	v_fma_f64 v[7:8], v[27:28], -0.5, v[7:8]
	v_add_f64 v[25:26], v[31:32], v[25:26]
	v_add_f64 v[9:10], v[43:44], v[9:10]
	v_add_f64 v[27:28], v[29:30], -v[33:34]
	v_add_f64 v[31:32], v[39:40], v[41:42]
	v_add_f64 v[23:24], v[23:24], v[51:52]
	v_fma_f64 v[39:40], v[35:36], s[0:1], v[15:16]
	v_fma_f64 v[15:16], v[35:36], s[20:21], v[15:16]
	;; [unrolled: 1-line block ×8, first 2 shown]
	v_add_f64 v[25:26], v[25:26], v[29:30]
	v_add_f64 v[9:10], v[9:10], v[11:12]
	;; [unrolled: 1-line block ×4, first 2 shown]
	v_fma_f64 v[11:12], v[37:38], s[12:13], v[39:40]
	v_fma_f64 v[15:16], v[37:38], s[26:27], v[15:16]
	;; [unrolled: 1-line block ×8, first 2 shown]
	v_add_f64 v[5:6], v[25:26], v[33:34]
	v_add_f64 v[7:8], v[9:10], v[13:14]
	v_mov_b32_e32 v25, 0x7d0
	v_lshlrev_b32_sdwa v26, v59, v56 dst_sel:DWORD dst_unused:UNUSED_PAD src0_sel:DWORD src1_sel:BYTE_0
	v_mul_u32_u24_sdwa v25, v55, v25 dst_sel:DWORD dst_unused:UNUSED_PAD src0_sel:WORD_0 src1_sel:DWORD
	v_add3_u32 v25, 0, v25, v26
	v_fma_f64 v[9:10], v[31:32], s[28:29], v[11:12]
	v_fma_f64 v[13:14], v[31:32], s[28:29], v[15:16]
	;; [unrolled: 1-line block ×8, first 2 shown]
	ds_write_b128 v25, v[5:8]
	ds_write_b128 v25, v[9:12] offset:400
	ds_write_b128 v25, v[17:20] offset:800
	;; [unrolled: 1-line block ×4, first 2 shown]
	s_waitcnt lgkmcnt(0)
	s_barrier
	buffer_gl0_inv
	s_clause 0x3
	global_load_dwordx4 v[5:8], v1, s[24:25] offset:1920
	global_load_dwordx4 v[9:12], v1, s[24:25] offset:1936
	;; [unrolled: 1-line block ×4, first 2 shown]
	ds_read_b128 v[21:24], v4 offset:2000
	ds_read_b128 v[25:28], v4 offset:4000
	;; [unrolled: 1-line block ×4, first 2 shown]
	v_mul_lo_u32 v1, v0, s10
	v_lshlrev_b64 v[57:58], 4, v[1:2]
	v_add_nc_u32_e32 v1, s9, v1
	v_lshlrev_b64 v[59:60], 4, v[1:2]
	v_add_nc_u32_e32 v1, s9, v1
	s_waitcnt vmcnt(3) lgkmcnt(3)
	v_mul_f64 v[37:38], v[23:24], v[7:8]
	s_waitcnt vmcnt(2) lgkmcnt(2)
	v_mul_f64 v[39:40], v[27:28], v[11:12]
	;; [unrolled: 2-line block ×4, first 2 shown]
	v_mul_f64 v[11:12], v[25:26], v[11:12]
	v_mul_f64 v[15:16], v[29:30], v[15:16]
	;; [unrolled: 1-line block ×4, first 2 shown]
	v_fma_f64 v[21:22], v[21:22], v[5:6], v[37:38]
	v_fma_f64 v[25:26], v[25:26], v[9:10], v[39:40]
	;; [unrolled: 1-line block ×4, first 2 shown]
	v_fma_f64 v[9:10], v[27:28], v[9:10], -v[11:12]
	v_fma_f64 v[11:12], v[31:32], v[13:14], -v[15:16]
	;; [unrolled: 1-line block ×4, first 2 shown]
	ds_read_b128 v[5:8], v4
	s_waitcnt lgkmcnt(0)
	s_barrier
	buffer_gl0_inv
	v_add_f64 v[15:16], v[25:26], v[29:30]
	v_add_f64 v[17:18], v[21:22], v[33:34]
	v_add_f64 v[41:42], v[21:22], -v[33:34]
	v_add_f64 v[19:20], v[9:10], v[11:12]
	v_add_f64 v[31:32], v[5:6], v[21:22]
	;; [unrolled: 1-line block ×4, first 2 shown]
	v_add_f64 v[35:36], v[23:24], -v[13:14]
	v_add_f64 v[37:38], v[9:10], -v[11:12]
	;; [unrolled: 1-line block ×8, first 2 shown]
	v_fma_f64 v[15:16], v[15:16], -0.5, v[5:6]
	v_fma_f64 v[5:6], v[17:18], -0.5, v[5:6]
	v_add_f64 v[17:18], v[25:26], -v[29:30]
	v_fma_f64 v[19:20], v[19:20], -0.5, v[7:8]
	v_fma_f64 v[7:8], v[27:28], -0.5, v[7:8]
	v_add_f64 v[27:28], v[21:22], -v[25:26]
	v_add_f64 v[21:22], v[25:26], -v[21:22]
	v_add_f64 v[25:26], v[31:32], v[25:26]
	v_add_f64 v[9:10], v[39:40], v[9:10]
	;; [unrolled: 1-line block ×3, first 2 shown]
	v_fma_f64 v[31:32], v[35:36], s[0:1], v[15:16]
	v_fma_f64 v[39:40], v[37:38], s[20:21], v[5:6]
	;; [unrolled: 1-line block ×8, first 2 shown]
	v_add_f64 v[25:26], v[25:26], v[29:30]
	v_add_f64 v[9:10], v[9:10], v[11:12]
	;; [unrolled: 1-line block ×5, first 2 shown]
	v_lshlrev_b64 v[45:46], 4, v[1:2]
	v_add_nc_u32_e32 v1, s9, v1
	s_lshl_b64 s[0:1], s[14:15], 4
	s_add_u32 s2, s2, s0
	s_addc_u32 s3, s3, s1
	v_lshlrev_b64 v[47:48], 4, v[1:2]
	v_add_nc_u32_e32 v1, s9, v1
	s_lshl_b64 s[0:1], s[4:5], 4
	v_fma_f64 v[11:12], v[37:38], s[12:13], v[31:32]
	v_fma_f64 v[29:30], v[35:36], s[12:13], v[39:40]
	;; [unrolled: 1-line block ×8, first 2 shown]
	v_add_f64 v[5:6], v[25:26], v[33:34]
	v_add_f64 v[7:8], v[9:10], v[13:14]
	s_add_u32 s2, s2, s0
	v_lshlrev_b64 v[25:26], 4, v[1:2]
	s_addc_u32 s3, s3, s1
	s_lshl_b64 s[0:1], s[6:7], 4
	s_add_u32 s0, s2, s0
	s_addc_u32 s1, s3, s1
	v_fma_f64 v[9:10], v[27:28], s[28:29], v[11:12]
	v_fma_f64 v[17:18], v[21:22], s[28:29], v[29:30]
	;; [unrolled: 1-line block ×8, first 2 shown]
	ds_write_b128 v4, v[5:8]
	ds_write_b128 v4, v[9:12] offset:2000
	ds_write_b128 v4, v[17:20] offset:4000
	ds_write_b128 v4, v[21:24] offset:6000
	ds_write_b128 v4, v[13:16] offset:8000
	s_waitcnt lgkmcnt(0)
	s_barrier
	buffer_gl0_inv
	ds_read_b128 v[4:7], v3
	ds_read_b128 v[8:11], v3 offset:2000
	ds_read_b128 v[12:15], v3 offset:4000
	;; [unrolled: 1-line block ×4, first 2 shown]
	v_add_co_u32 v27, vcc_lo, s0, v57
	v_add_co_ci_u32_e32 v28, vcc_lo, s1, v58, vcc_lo
	v_add_co_u32 v20, vcc_lo, s0, v59
	v_add_co_ci_u32_e32 v21, vcc_lo, s1, v60, vcc_lo
	;; [unrolled: 2-line block ×5, first 2 shown]
	s_waitcnt lgkmcnt(4)
	global_store_dwordx4 v[27:28], v[4:7], off
	s_waitcnt lgkmcnt(3)
	global_store_dwordx4 v[20:21], v[8:11], off
	;; [unrolled: 2-line block ×5, first 2 shown]
	s_endpgm
	.section	.rodata,"a",@progbits
	.p2align	6, 0x0
	.amdhsa_kernel fft_rtc_back_len625_factors_5_5_5_5_wgs_125_tpt_125_dp_op_CI_CI_sbrc_xy_z_aligned
		.amdhsa_group_segment_fixed_size 0
		.amdhsa_private_segment_fixed_size 0
		.amdhsa_kernarg_size 104
		.amdhsa_user_sgpr_count 6
		.amdhsa_user_sgpr_private_segment_buffer 1
		.amdhsa_user_sgpr_dispatch_ptr 0
		.amdhsa_user_sgpr_queue_ptr 0
		.amdhsa_user_sgpr_kernarg_segment_ptr 1
		.amdhsa_user_sgpr_dispatch_id 0
		.amdhsa_user_sgpr_flat_scratch_init 0
		.amdhsa_user_sgpr_private_segment_size 0
		.amdhsa_wavefront_size32 1
		.amdhsa_uses_dynamic_stack 0
		.amdhsa_system_sgpr_private_segment_wavefront_offset 0
		.amdhsa_system_sgpr_workgroup_id_x 1
		.amdhsa_system_sgpr_workgroup_id_y 0
		.amdhsa_system_sgpr_workgroup_id_z 0
		.amdhsa_system_sgpr_workgroup_info 0
		.amdhsa_system_vgpr_workitem_id 0
		.amdhsa_next_free_vgpr 61
		.amdhsa_next_free_sgpr 32
		.amdhsa_reserve_vcc 1
		.amdhsa_reserve_flat_scratch 0
		.amdhsa_float_round_mode_32 0
		.amdhsa_float_round_mode_16_64 0
		.amdhsa_float_denorm_mode_32 3
		.amdhsa_float_denorm_mode_16_64 3
		.amdhsa_dx10_clamp 1
		.amdhsa_ieee_mode 1
		.amdhsa_fp16_overflow 0
		.amdhsa_workgroup_processor_mode 1
		.amdhsa_memory_ordered 1
		.amdhsa_forward_progress 0
		.amdhsa_shared_vgpr_count 0
		.amdhsa_exception_fp_ieee_invalid_op 0
		.amdhsa_exception_fp_denorm_src 0
		.amdhsa_exception_fp_ieee_div_zero 0
		.amdhsa_exception_fp_ieee_overflow 0
		.amdhsa_exception_fp_ieee_underflow 0
		.amdhsa_exception_fp_ieee_inexact 0
		.amdhsa_exception_int_div_zero 0
	.end_amdhsa_kernel
	.text
.Lfunc_end0:
	.size	fft_rtc_back_len625_factors_5_5_5_5_wgs_125_tpt_125_dp_op_CI_CI_sbrc_xy_z_aligned, .Lfunc_end0-fft_rtc_back_len625_factors_5_5_5_5_wgs_125_tpt_125_dp_op_CI_CI_sbrc_xy_z_aligned
                                        ; -- End function
	.section	.AMDGPU.csdata,"",@progbits
; Kernel info:
; codeLenInByte = 4432
; NumSgprs: 34
; NumVgprs: 61
; ScratchSize: 0
; MemoryBound: 0
; FloatMode: 240
; IeeeMode: 1
; LDSByteSize: 0 bytes/workgroup (compile time only)
; SGPRBlocks: 4
; VGPRBlocks: 7
; NumSGPRsForWavesPerEU: 34
; NumVGPRsForWavesPerEU: 61
; Occupancy: 16
; WaveLimiterHint : 1
; COMPUTE_PGM_RSRC2:SCRATCH_EN: 0
; COMPUTE_PGM_RSRC2:USER_SGPR: 6
; COMPUTE_PGM_RSRC2:TRAP_HANDLER: 0
; COMPUTE_PGM_RSRC2:TGID_X_EN: 1
; COMPUTE_PGM_RSRC2:TGID_Y_EN: 0
; COMPUTE_PGM_RSRC2:TGID_Z_EN: 0
; COMPUTE_PGM_RSRC2:TIDIG_COMP_CNT: 0
	.text
	.p2alignl 6, 3214868480
	.fill 48, 4, 3214868480
	.type	__hip_cuid_3d75b70805abfca0,@object ; @__hip_cuid_3d75b70805abfca0
	.section	.bss,"aw",@nobits
	.globl	__hip_cuid_3d75b70805abfca0
__hip_cuid_3d75b70805abfca0:
	.byte	0                               ; 0x0
	.size	__hip_cuid_3d75b70805abfca0, 1

	.ident	"AMD clang version 19.0.0git (https://github.com/RadeonOpenCompute/llvm-project roc-6.4.0 25133 c7fe45cf4b819c5991fe208aaa96edf142730f1d)"
	.section	".note.GNU-stack","",@progbits
	.addrsig
	.addrsig_sym __hip_cuid_3d75b70805abfca0
	.amdgpu_metadata
---
amdhsa.kernels:
  - .args:
      - .actual_access:  read_only
        .address_space:  global
        .offset:         0
        .size:           8
        .value_kind:     global_buffer
      - .offset:         8
        .size:           8
        .value_kind:     by_value
      - .actual_access:  read_only
        .address_space:  global
        .offset:         16
        .size:           8
        .value_kind:     global_buffer
      - .actual_access:  read_only
        .address_space:  global
        .offset:         24
        .size:           8
        .value_kind:     global_buffer
      - .actual_access:  read_only
        .address_space:  global
        .offset:         32
        .size:           8
        .value_kind:     global_buffer
      - .offset:         40
        .size:           8
        .value_kind:     by_value
      - .actual_access:  read_only
        .address_space:  global
        .offset:         48
        .size:           8
        .value_kind:     global_buffer
      - .actual_access:  read_only
        .address_space:  global
        .offset:         56
        .size:           8
        .value_kind:     global_buffer
      - .offset:         64
        .size:           4
        .value_kind:     by_value
      - .actual_access:  read_only
        .address_space:  global
        .offset:         72
        .size:           8
        .value_kind:     global_buffer
      - .actual_access:  read_only
        .address_space:  global
        .offset:         80
        .size:           8
        .value_kind:     global_buffer
      - .actual_access:  read_only
        .address_space:  global
        .offset:         88
        .size:           8
        .value_kind:     global_buffer
      - .actual_access:  write_only
        .address_space:  global
        .offset:         96
        .size:           8
        .value_kind:     global_buffer
    .group_segment_fixed_size: 0
    .kernarg_segment_align: 8
    .kernarg_segment_size: 104
    .language:       OpenCL C
    .language_version:
      - 2
      - 0
    .max_flat_workgroup_size: 125
    .name:           fft_rtc_back_len625_factors_5_5_5_5_wgs_125_tpt_125_dp_op_CI_CI_sbrc_xy_z_aligned
    .private_segment_fixed_size: 0
    .sgpr_count:     34
    .sgpr_spill_count: 0
    .symbol:         fft_rtc_back_len625_factors_5_5_5_5_wgs_125_tpt_125_dp_op_CI_CI_sbrc_xy_z_aligned.kd
    .uniform_work_group_size: 1
    .uses_dynamic_stack: false
    .vgpr_count:     61
    .vgpr_spill_count: 0
    .wavefront_size: 32
    .workgroup_processor_mode: 1
amdhsa.target:   amdgcn-amd-amdhsa--gfx1030
amdhsa.version:
  - 1
  - 2
...

	.end_amdgpu_metadata
